;; amdgpu-corpus repo=ROCm/rocFFT kind=compiled arch=gfx950 opt=O3
	.text
	.amdgcn_target "amdgcn-amd-amdhsa--gfx950"
	.amdhsa_code_object_version 6
	.protected	fft_rtc_back_len750_factors_10_5_3_5_wgs_250_tpt_250_halfLds_dp_op_CI_CI_unitstride_sbrr_dirReg ; -- Begin function fft_rtc_back_len750_factors_10_5_3_5_wgs_250_tpt_250_halfLds_dp_op_CI_CI_unitstride_sbrr_dirReg
	.globl	fft_rtc_back_len750_factors_10_5_3_5_wgs_250_tpt_250_halfLds_dp_op_CI_CI_unitstride_sbrr_dirReg
	.p2align	8
	.type	fft_rtc_back_len750_factors_10_5_3_5_wgs_250_tpt_250_halfLds_dp_op_CI_CI_unitstride_sbrr_dirReg,@function
fft_rtc_back_len750_factors_10_5_3_5_wgs_250_tpt_250_halfLds_dp_op_CI_CI_unitstride_sbrr_dirReg: ; @fft_rtc_back_len750_factors_10_5_3_5_wgs_250_tpt_250_halfLds_dp_op_CI_CI_unitstride_sbrr_dirReg
; %bb.0:
	s_load_dwordx4 s[4:7], s[0:1], 0x58
	s_load_dwordx4 s[8:11], s[0:1], 0x0
	;; [unrolled: 1-line block ×3, first 2 shown]
	v_mul_u32_u24_e32 v1, 0x107, v0
	v_add_u32_sdwa v6, s2, v1 dst_sel:DWORD dst_unused:UNUSED_PAD src0_sel:DWORD src1_sel:WORD_1
	v_mov_b32_e32 v2, 0
	s_waitcnt lgkmcnt(0)
	v_cmp_lt_u64_e64 s[2:3], s[10:11], 2
	v_mov_b32_e32 v7, v2
	s_and_b64 vcc, exec, s[2:3]
	v_mov_b64_e32 v[4:5], 0
	s_cbranch_vccnz .LBB0_8
; %bb.1:
	s_load_dwordx2 s[2:3], s[0:1], 0x10
	s_add_u32 s16, s14, 8
	s_addc_u32 s17, s15, 0
	s_add_u32 s18, s12, 8
	s_addc_u32 s19, s13, 0
	s_waitcnt lgkmcnt(0)
	s_add_u32 s20, s2, 8
	v_mov_b64_e32 v[4:5], 0
	s_addc_u32 s21, s3, 0
	s_mov_b64 s[22:23], 1
	v_mov_b64_e32 v[50:51], v[4:5]
.LBB0_2:                                ; =>This Inner Loop Header: Depth=1
	s_load_dwordx2 s[24:25], s[20:21], 0x0
                                        ; implicit-def: $vgpr54_vgpr55
	s_waitcnt lgkmcnt(0)
	v_or_b32_e32 v3, s25, v7
	v_cmp_ne_u64_e32 vcc, 0, v[2:3]
	s_and_saveexec_b64 s[2:3], vcc
	s_xor_b64 s[26:27], exec, s[2:3]
	s_cbranch_execz .LBB0_4
; %bb.3:                                ;   in Loop: Header=BB0_2 Depth=1
	v_cvt_f32_u32_e32 v1, s24
	v_cvt_f32_u32_e32 v3, s25
	s_sub_u32 s2, 0, s24
	s_subb_u32 s3, 0, s25
	v_fmac_f32_e32 v1, 0x4f800000, v3
	v_rcp_f32_e32 v1, v1
	s_nop 0
	v_mul_f32_e32 v1, 0x5f7ffffc, v1
	v_mul_f32_e32 v3, 0x2f800000, v1
	v_trunc_f32_e32 v3, v3
	v_fmac_f32_e32 v1, 0xcf800000, v3
	v_cvt_u32_f32_e32 v3, v3
	v_cvt_u32_f32_e32 v1, v1
	v_mul_lo_u32 v8, s2, v3
	v_mul_hi_u32 v10, s2, v1
	v_mul_lo_u32 v9, s3, v1
	v_add_u32_e32 v10, v10, v8
	v_mul_lo_u32 v12, s2, v1
	v_add_u32_e32 v13, v10, v9
	v_mul_hi_u32 v8, v1, v12
	v_mul_hi_u32 v11, v1, v13
	v_mul_lo_u32 v10, v1, v13
	v_mov_b32_e32 v9, v2
	v_lshl_add_u64 v[8:9], v[8:9], 0, v[10:11]
	v_mul_hi_u32 v11, v3, v12
	v_mul_lo_u32 v12, v3, v12
	v_add_co_u32_e32 v8, vcc, v8, v12
	v_mul_hi_u32 v10, v3, v13
	s_nop 0
	v_addc_co_u32_e32 v8, vcc, v9, v11, vcc
	v_mov_b32_e32 v9, v2
	s_nop 0
	v_addc_co_u32_e32 v11, vcc, 0, v10, vcc
	v_mul_lo_u32 v10, v3, v13
	v_lshl_add_u64 v[8:9], v[8:9], 0, v[10:11]
	v_add_co_u32_e32 v1, vcc, v1, v8
	v_mul_lo_u32 v10, s2, v1
	s_nop 0
	v_addc_co_u32_e32 v3, vcc, v3, v9, vcc
	v_mul_lo_u32 v8, s2, v3
	v_mul_hi_u32 v9, s2, v1
	v_add_u32_e32 v8, v9, v8
	v_mul_lo_u32 v9, s3, v1
	v_add_u32_e32 v12, v8, v9
	v_mul_hi_u32 v14, v3, v10
	v_mul_lo_u32 v15, v3, v10
	v_mul_hi_u32 v9, v1, v12
	v_mul_lo_u32 v8, v1, v12
	v_mul_hi_u32 v10, v1, v10
	v_mov_b32_e32 v11, v2
	v_lshl_add_u64 v[8:9], v[10:11], 0, v[8:9]
	v_add_co_u32_e32 v8, vcc, v8, v15
	v_mul_hi_u32 v13, v3, v12
	s_nop 0
	v_addc_co_u32_e32 v8, vcc, v9, v14, vcc
	v_mul_lo_u32 v10, v3, v12
	s_nop 0
	v_addc_co_u32_e32 v11, vcc, 0, v13, vcc
	v_mov_b32_e32 v9, v2
	v_lshl_add_u64 v[8:9], v[8:9], 0, v[10:11]
	v_add_co_u32_e32 v1, vcc, v1, v8
	v_mul_hi_u32 v10, v6, v1
	s_nop 0
	v_addc_co_u32_e32 v3, vcc, v3, v9, vcc
	v_mad_u64_u32 v[8:9], s[2:3], v6, v3, 0
	v_mov_b32_e32 v11, v2
	v_lshl_add_u64 v[8:9], v[10:11], 0, v[8:9]
	v_mad_u64_u32 v[12:13], s[2:3], v7, v1, 0
	v_add_co_u32_e32 v1, vcc, v8, v12
	v_mad_u64_u32 v[10:11], s[2:3], v7, v3, 0
	s_nop 0
	v_addc_co_u32_e32 v8, vcc, v9, v13, vcc
	v_mov_b32_e32 v9, v2
	s_nop 0
	v_addc_co_u32_e32 v11, vcc, 0, v11, vcc
	v_lshl_add_u64 v[8:9], v[8:9], 0, v[10:11]
	v_mul_lo_u32 v1, s25, v8
	v_mul_lo_u32 v3, s24, v9
	v_mad_u64_u32 v[10:11], s[2:3], s24, v8, 0
	v_add3_u32 v1, v11, v3, v1
	v_sub_u32_e32 v3, v7, v1
	v_mov_b32_e32 v11, s25
	v_sub_co_u32_e32 v14, vcc, v6, v10
	v_lshl_add_u64 v[12:13], v[8:9], 0, 1
	s_nop 0
	v_subb_co_u32_e64 v3, s[2:3], v3, v11, vcc
	v_subrev_co_u32_e64 v10, s[2:3], s24, v14
	v_subb_co_u32_e32 v1, vcc, v7, v1, vcc
	s_nop 0
	v_subbrev_co_u32_e64 v3, s[2:3], 0, v3, s[2:3]
	v_cmp_le_u32_e64 s[2:3], s25, v3
	v_cmp_le_u32_e32 vcc, s25, v1
	s_nop 0
	v_cndmask_b32_e64 v11, 0, -1, s[2:3]
	v_cmp_le_u32_e64 s[2:3], s24, v10
	s_nop 1
	v_cndmask_b32_e64 v10, 0, -1, s[2:3]
	v_cmp_eq_u32_e64 s[2:3], s25, v3
	s_nop 1
	v_cndmask_b32_e64 v3, v11, v10, s[2:3]
	v_lshl_add_u64 v[10:11], v[8:9], 0, 2
	v_cmp_ne_u32_e64 s[2:3], 0, v3
	s_nop 1
	v_cndmask_b32_e64 v3, v13, v11, s[2:3]
	v_cndmask_b32_e64 v11, 0, -1, vcc
	v_cmp_le_u32_e32 vcc, s24, v14
	s_nop 1
	v_cndmask_b32_e64 v13, 0, -1, vcc
	v_cmp_eq_u32_e32 vcc, s25, v1
	s_nop 1
	v_cndmask_b32_e32 v1, v11, v13, vcc
	v_cmp_ne_u32_e32 vcc, 0, v1
	v_cndmask_b32_e64 v1, v12, v10, s[2:3]
	s_nop 0
	v_cndmask_b32_e32 v55, v9, v3, vcc
	v_cndmask_b32_e32 v54, v8, v1, vcc
.LBB0_4:                                ;   in Loop: Header=BB0_2 Depth=1
	s_andn2_saveexec_b64 s[2:3], s[26:27]
	s_cbranch_execz .LBB0_6
; %bb.5:                                ;   in Loop: Header=BB0_2 Depth=1
	v_cvt_f32_u32_e32 v1, s24
	s_sub_i32 s26, 0, s24
	v_mov_b32_e32 v55, v2
	v_rcp_iflag_f32_e32 v1, v1
	s_nop 0
	v_mul_f32_e32 v1, 0x4f7ffffe, v1
	v_cvt_u32_f32_e32 v1, v1
	v_mul_lo_u32 v3, s26, v1
	v_mul_hi_u32 v3, v1, v3
	v_add_u32_e32 v1, v1, v3
	v_mul_hi_u32 v1, v6, v1
	v_mul_lo_u32 v3, v1, s24
	v_sub_u32_e32 v3, v6, v3
	v_add_u32_e32 v8, 1, v1
	v_subrev_u32_e32 v9, s24, v3
	v_cmp_le_u32_e32 vcc, s24, v3
	s_nop 1
	v_cndmask_b32_e32 v3, v3, v9, vcc
	v_cndmask_b32_e32 v1, v1, v8, vcc
	v_add_u32_e32 v8, 1, v1
	v_cmp_le_u32_e32 vcc, s24, v3
	s_nop 1
	v_cndmask_b32_e32 v54, v1, v8, vcc
.LBB0_6:                                ;   in Loop: Header=BB0_2 Depth=1
	s_or_b64 exec, exec, s[2:3]
	v_mad_u64_u32 v[8:9], s[2:3], v54, s24, 0
	s_load_dwordx2 s[2:3], s[18:19], 0x0
	v_mul_lo_u32 v1, v55, s24
	v_mul_lo_u32 v3, v54, s25
	s_load_dwordx2 s[24:25], s[16:17], 0x0
	s_add_u32 s22, s22, 1
	v_add3_u32 v1, v9, v3, v1
	v_sub_co_u32_e32 v3, vcc, v6, v8
	s_addc_u32 s23, s23, 0
	s_nop 0
	v_subb_co_u32_e32 v1, vcc, v7, v1, vcc
	s_add_u32 s16, s16, 8
	s_waitcnt lgkmcnt(0)
	v_mul_lo_u32 v6, s2, v1
	v_mul_lo_u32 v7, s3, v3
	v_mad_u64_u32 v[4:5], s[2:3], s2, v3, v[4:5]
	s_addc_u32 s17, s17, 0
	v_add3_u32 v5, v7, v5, v6
	v_mul_lo_u32 v1, s24, v1
	v_mul_lo_u32 v6, s25, v3
	v_mad_u64_u32 v[50:51], s[2:3], s24, v3, v[50:51]
	s_add_u32 s18, s18, 8
	v_add3_u32 v51, v6, v51, v1
	s_addc_u32 s19, s19, 0
	v_mov_b64_e32 v[6:7], s[10:11]
	s_add_u32 s20, s20, 8
	v_cmp_ge_u64_e32 vcc, s[22:23], v[6:7]
	s_addc_u32 s21, s21, 0
	s_cbranch_vccnz .LBB0_9
; %bb.7:                                ;   in Loop: Header=BB0_2 Depth=1
	v_mov_b64_e32 v[6:7], v[54:55]
	s_branch .LBB0_2
.LBB0_8:
	v_mov_b64_e32 v[50:51], v[4:5]
	v_mov_b64_e32 v[54:55], v[6:7]
.LBB0_9:
	s_load_dwordx2 s[2:3], s[0:1], 0x28
	s_mov_b32 s16, 0x10624de
	v_mul_hi_u32 v1, v0, s16
	v_mul_u32_u24_e32 v1, 0xfa, v1
	s_lshl_b64 s[0:1], s[10:11], 3
	s_waitcnt lgkmcnt(0)
	v_cmp_gt_u64_e32 vcc, s[2:3], v[54:55]
	v_sub_u32_e32 v52, v0, v1
	s_movk_i32 s2, 0x4b
	s_add_u32 s10, s14, s0
	v_cmp_gt_u32_e64 s[2:3], s2, v52
	s_addc_u32 s11, s15, s1
	s_and_b64 s[16:17], vcc, s[2:3]
                                        ; implicit-def: $vgpr36_vgpr37
                                        ; implicit-def: $vgpr40_vgpr41
                                        ; implicit-def: $vgpr28_vgpr29
                                        ; implicit-def: $vgpr32_vgpr33
                                        ; implicit-def: $vgpr18_vgpr19
                                        ; implicit-def: $vgpr22_vgpr23
                                        ; implicit-def: $vgpr10_vgpr11
                                        ; implicit-def: $vgpr14_vgpr15
                                        ; implicit-def: $vgpr6_vgpr7
                                        ; implicit-def: $vgpr2_vgpr3
	s_and_saveexec_b64 s[14:15], s[16:17]
	s_cbranch_execz .LBB0_11
; %bb.10:
	s_add_u32 s0, s12, s0
	s_addc_u32 s1, s13, s1
	s_load_dwordx2 s[0:1], s[0:1], 0x0
	v_mov_b32_e32 v53, 0
	s_waitcnt lgkmcnt(0)
	v_mul_lo_u32 v2, s1, v54
	v_mul_lo_u32 v3, s0, v55
	v_mad_u64_u32 v[0:1], s[0:1], s0, v54, 0
	v_add3_u32 v1, v1, v3, v2
	v_lshl_add_u64 v[0:1], v[0:1], 4, s[4:5]
	v_lshl_add_u64 v[0:1], v[4:5], 4, v[0:1]
	;; [unrolled: 1-line block ×3, first 2 shown]
	s_movk_i32 s0, 0x1000
	v_add_co_u32_e64 v42, s[0:1], s0, v24
	global_load_dwordx4 v[0:3], v[24:25], off
	global_load_dwordx4 v[4:7], v[24:25], off offset:1200
	global_load_dwordx4 v[12:15], v[24:25], off offset:2400
	;; [unrolled: 1-line block ×3, first 2 shown]
	v_addc_co_u32_e64 v43, s[0:1], 0, v25, s[0:1]
	s_movk_i32 s0, 0x2000
	s_nop 0
	v_add_co_u32_e64 v24, s[0:1], s0, v24
	global_load_dwordx4 v[20:23], v[42:43], off offset:704
	global_load_dwordx4 v[16:19], v[42:43], off offset:1904
	v_addc_co_u32_e64 v25, s[0:1], 0, v25, s[0:1]
	global_load_dwordx4 v[30:33], v[42:43], off offset:3104
	global_load_dwordx4 v[26:29], v[24:25], off offset:208
	;; [unrolled: 1-line block ×4, first 2 shown]
.LBB0_11:
	s_or_b64 exec, exec, s[14:15]
	s_waitcnt vmcnt(3)
	v_add_f64 v[42:43], v[30:31], v[20:21]
	s_mov_b32 s4, 0x134454ff
	v_fma_f64 v[70:71], -0.5, v[42:43], v[0:1]
	s_waitcnt vmcnt(1)
	v_add_f64 v[42:43], v[14:15], -v[40:41]
	s_mov_b32 s5, 0xbfee6f0e
	s_mov_b32 s0, 0x4755a5e
	;; [unrolled: 1-line block ×4, first 2 shown]
	v_fma_f64 v[48:49], s[4:5], v[42:43], v[70:71]
	v_add_f64 v[44:45], v[22:23], -v[32:33]
	s_mov_b32 s1, 0xbfe2cf23
	v_add_f64 v[46:47], v[12:13], -v[20:21]
	v_add_f64 v[56:57], v[38:39], -v[30:31]
	v_fmac_f64_e32 v[70:71], s[14:15], v[42:43]
	s_mov_b32 s17, 0x3fe2cf23
	s_mov_b32 s16, s0
	v_fmac_f64_e32 v[48:49], s[0:1], v[44:45]
	v_add_f64 v[46:47], v[56:57], v[46:47]
	s_mov_b32 s13, 0x3fd3c6ef
	s_mov_b32 s12, 0x372fe950
	v_fmac_f64_e32 v[70:71], s[16:17], v[44:45]
	v_fmac_f64_e32 v[48:49], s[12:13], v[46:47]
	;; [unrolled: 1-line block ×3, first 2 shown]
	v_add_f64 v[46:47], v[38:39], v[12:13]
	v_add_f64 v[24:25], v[12:13], v[0:1]
	v_fmac_f64_e32 v[0:1], -0.5, v[46:47]
	v_fma_f64 v[72:73], s[14:15], v[44:45], v[0:1]
	v_add_f64 v[46:47], v[20:21], -v[12:13]
	v_add_f64 v[56:57], v[30:31], -v[38:39]
	v_fmac_f64_e32 v[0:1], s[4:5], v[44:45]
	v_fmac_f64_e32 v[72:73], s[0:1], v[42:43]
	v_add_f64 v[46:47], v[56:57], v[46:47]
	v_fmac_f64_e32 v[0:1], s[16:17], v[42:43]
	v_add_f64 v[42:43], v[26:27], v[16:17]
	v_fmac_f64_e32 v[72:73], s[12:13], v[46:47]
	v_fmac_f64_e32 v[0:1], s[12:13], v[46:47]
	v_fma_f64 v[56:57], -0.5, v[42:43], v[4:5]
	s_waitcnt vmcnt(0)
	v_add_f64 v[42:43], v[10:11], -v[36:37]
	v_add_f64 v[44:45], v[8:9], -v[16:17]
	;; [unrolled: 1-line block ×3, first 2 shown]
	v_fma_f64 v[58:59], s[4:5], v[42:43], v[56:57]
	v_add_f64 v[44:45], v[46:47], v[44:45]
	v_add_f64 v[46:47], v[18:19], -v[28:29]
	v_fmac_f64_e32 v[56:57], s[14:15], v[42:43]
	v_fmac_f64_e32 v[58:59], s[0:1], v[46:47]
	;; [unrolled: 1-line block ×3, first 2 shown]
	v_add_f64 v[60:61], v[34:35], v[8:9]
	v_fmac_f64_e32 v[58:59], s[12:13], v[44:45]
	v_fmac_f64_e32 v[56:57], s[12:13], v[44:45]
	v_add_f64 v[44:45], v[8:9], v[4:5]
	v_fmac_f64_e32 v[4:5], -0.5, v[60:61]
	v_add_f64 v[60:61], v[16:17], -v[8:9]
	v_add_f64 v[62:63], v[26:27], -v[34:35]
	v_add_f64 v[62:63], v[62:63], v[60:61]
	v_fma_f64 v[60:61], s[14:15], v[46:47], v[4:5]
	v_fmac_f64_e32 v[4:5], s[4:5], v[46:47]
	v_fmac_f64_e32 v[60:61], s[0:1], v[42:43]
	;; [unrolled: 1-line block ×3, first 2 shown]
	v_add_f64 v[42:43], v[10:11], -v[18:19]
	v_add_f64 v[46:47], v[36:37], -v[28:29]
	v_add_f64 v[42:43], v[46:47], v[42:43]
	v_add_f64 v[46:47], v[28:29], v[18:19]
	v_fmac_f64_e32 v[60:61], s[12:13], v[62:63]
	v_fmac_f64_e32 v[4:5], s[12:13], v[62:63]
	v_fma_f64 v[62:63], -0.5, v[46:47], v[6:7]
	v_add_f64 v[8:9], v[8:9], -v[34:35]
	v_fma_f64 v[64:65], s[14:15], v[8:9], v[62:63]
	v_add_f64 v[46:47], v[16:17], -v[26:27]
	v_fmac_f64_e32 v[62:63], s[4:5], v[8:9]
	v_fmac_f64_e32 v[64:65], s[16:17], v[46:47]
	;; [unrolled: 1-line block ×5, first 2 shown]
	v_add_f64 v[42:43], v[18:19], -v[10:11]
	v_add_f64 v[66:67], v[28:29], -v[36:37]
	v_add_f64 v[42:43], v[66:67], v[42:43]
	v_add_f64 v[66:67], v[36:37], v[10:11]
	v_fma_f64 v[66:67], -0.5, v[66:67], v[6:7]
	v_fma_f64 v[68:69], s[4:5], v[46:47], v[66:67]
	v_fmac_f64_e32 v[66:67], s[14:15], v[46:47]
	v_fmac_f64_e32 v[68:69], s[16:17], v[8:9]
	v_add_f64 v[16:17], v[16:17], v[44:45]
	v_fmac_f64_e32 v[66:67], s[0:1], v[8:9]
	v_fmac_f64_e32 v[68:69], s[12:13], v[42:43]
	v_add_f64 v[16:17], v[26:27], v[16:17]
	v_fmac_f64_e32 v[66:67], s[12:13], v[42:43]
	v_add_f64 v[8:9], v[20:21], v[24:25]
	v_add_f64 v[16:17], v[34:35], v[16:17]
	s_mov_b32 s15, 0x3fe9e377
	s_mov_b32 s14, 0x9b97f4a8
	v_mul_f64 v[34:35], v[64:65], s[0:1]
	v_mul_f64 v[74:75], v[68:69], s[4:5]
	v_add_f64 v[8:9], v[30:31], v[8:9]
	v_fmac_f64_e32 v[34:35], s[14:15], v[58:59]
	v_fmac_f64_e32 v[74:75], s[12:13], v[60:61]
	s_mov_b32 s13, 0xbfd3c6ef
	v_mul_f64 v[76:77], v[66:67], s[4:5]
	s_mov_b32 s15, 0xbfe9e377
	v_mul_f64 v[78:79], v[62:63], s[0:1]
	v_add_f64 v[8:9], v[38:39], v[8:9]
	v_fmac_f64_e32 v[76:77], s[12:13], v[4:5]
	v_fmac_f64_e32 v[78:79], s[14:15], v[56:57]
	v_add_f64 v[24:25], v[16:17], v[8:9]
	v_add_f64 v[26:27], v[48:49], v[34:35]
	;; [unrolled: 1-line block ×4, first 2 shown]
	v_mul_u32_u24_e32 v53, 10, v52
	v_add_f64 v[46:47], v[70:71], v[78:79]
	s_and_saveexec_b64 s[0:1], s[2:3]
	s_cbranch_execz .LBB0_13
; %bb.12:
	v_add_f64 v[76:77], v[0:1], -v[76:77]
	v_lshl_add_u32 v0, v53, 3, 0
	v_add_f64 v[78:79], v[70:71], -v[78:79]
	v_add_f64 v[72:73], v[72:73], -v[74:75]
	;; [unrolled: 1-line block ×4, first 2 shown]
	ds_write_b128 v0, v[24:27]
	ds_write_b128 v0, v[42:45] offset:16
	ds_write_b128 v0, v[46:49] offset:32
	;; [unrolled: 1-line block ×4, first 2 shown]
.LBB0_13:
	s_or_b64 exec, exec, s[0:1]
	s_movk_i32 s0, 0x96
	v_cmp_gt_u32_e64 s[0:1], s0, v52
	v_lshl_add_u32 v48, v52, 3, 0
	s_waitcnt lgkmcnt(0)
	s_barrier
	s_and_saveexec_b64 s[4:5], s[0:1]
	s_cbranch_execz .LBB0_15
; %bb.14:
	v_add_u32_e32 v0, 0x800, v48
	ds_read2_b64 v[24:27], v48 offset1:150
	ds_read2_b64 v[42:45], v0 offset0:44 offset1:194
	ds_read_b64 v[46:47], v48 offset:4800
.LBB0_15:
	s_or_b64 exec, exec, s[4:5]
	v_add_f64 v[0:1], v[14:15], v[2:3]
	v_add_f64 v[0:1], v[22:23], v[0:1]
	;; [unrolled: 1-line block ×5, first 2 shown]
	s_mov_b32 s4, 0x134454ff
	v_fma_f64 v[0:1], -0.5, v[0:1], v[2:3]
	v_add_f64 v[8:9], v[12:13], -v[38:39]
	s_mov_b32 s5, 0x3fee6f0e
	s_mov_b32 s12, 0x4755a5e
	;; [unrolled: 1-line block ×4, first 2 shown]
	v_fma_f64 v[34:35], s[4:5], v[8:9], v[0:1]
	v_add_f64 v[12:13], v[20:21], -v[30:31]
	s_mov_b32 s13, 0x3fe2cf23
	v_add_f64 v[20:21], v[14:15], -v[22:23]
	v_add_f64 v[30:31], v[40:41], -v[32:33]
	s_mov_b32 s14, 0x372fe950
	v_fmac_f64_e32 v[0:1], s[16:17], v[8:9]
	s_mov_b32 s19, 0xbfe2cf23
	s_mov_b32 s18, s12
	v_fmac_f64_e32 v[34:35], s[12:13], v[12:13]
	v_add_f64 v[20:21], v[30:31], v[20:21]
	s_mov_b32 s15, 0x3fd3c6ef
	v_fmac_f64_e32 v[0:1], s[18:19], v[12:13]
	v_fmac_f64_e32 v[34:35], s[14:15], v[20:21]
	v_fmac_f64_e32 v[0:1], s[14:15], v[20:21]
	v_add_f64 v[20:21], v[40:41], v[14:15]
	v_fmac_f64_e32 v[2:3], -0.5, v[20:21]
	v_fma_f64 v[20:21], s[16:17], v[12:13], v[2:3]
	v_add_f64 v[14:15], v[22:23], -v[14:15]
	v_add_f64 v[22:23], v[32:33], -v[40:41]
	v_fmac_f64_e32 v[2:3], s[4:5], v[12:13]
	v_fmac_f64_e32 v[20:21], s[12:13], v[8:9]
	v_add_f64 v[14:15], v[22:23], v[14:15]
	v_fmac_f64_e32 v[2:3], s[18:19], v[8:9]
	v_add_f64 v[6:7], v[10:11], v[6:7]
	s_mov_b32 s16, 0x9b97f4a8
	v_fmac_f64_e32 v[20:21], s[14:15], v[14:15]
	v_fmac_f64_e32 v[2:3], s[14:15], v[14:15]
	v_add_f64 v[6:7], v[18:19], v[6:7]
	s_mov_b32 s17, 0x3fe9e377
	v_mul_f64 v[14:15], v[66:67], s[14:15]
	v_add_f64 v[6:7], v[28:29], v[6:7]
	v_mul_f64 v[18:19], v[58:59], s[12:13]
	v_mul_f64 v[22:23], v[60:61], s[4:5]
	v_fma_f64 v[28:29], v[4:5], s[4:5], -v[14:15]
	v_mul_f64 v[4:5], v[62:63], s[16:17]
	v_add_f64 v[6:7], v[36:37], v[6:7]
	v_fmac_f64_e32 v[18:19], s[16:17], v[64:65]
	v_fmac_f64_e32 v[22:23], s[14:15], v[68:69]
	v_fma_f64 v[30:31], v[56:57], s[12:13], -v[4:5]
	v_add_f64 v[8:9], v[6:7], v[16:17]
	v_add_f64 v[10:11], v[34:35], v[18:19]
	;; [unrolled: 1-line block ×5, first 2 shown]
	s_waitcnt lgkmcnt(0)
	s_barrier
	s_and_saveexec_b64 s[4:5], s[2:3]
	s_cbranch_execz .LBB0_17
; %bb.16:
	v_add_f64 v[6:7], v[16:17], -v[6:7]
	v_add_f64 v[16:17], v[34:35], -v[18:19]
	;; [unrolled: 1-line block ×4, first 2 shown]
	v_lshl_add_u32 v0, v53, 3, 0
	v_add_f64 v[20:21], v[2:3], -v[28:29]
	ds_write_b128 v0, v[8:11]
	ds_write_b128 v0, v[12:15] offset:16
	ds_write_b128 v0, v[4:7] offset:32
	;; [unrolled: 1-line block ×4, first 2 shown]
.LBB0_17:
	s_or_b64 exec, exec, s[4:5]
	s_waitcnt lgkmcnt(0)
	s_barrier
	s_and_saveexec_b64 s[2:3], s[0:1]
	s_cbranch_execz .LBB0_19
; %bb.18:
	v_add_u32_e32 v0, 0x800, v48
	ds_read2_b64 v[8:11], v48 offset1:150
	ds_read2_b64 v[12:15], v0 offset0:44 offset1:194
	ds_read_b64 v[4:5], v48 offset:4800
.LBB0_19:
	s_or_b64 exec, exec, s[2:3]
	s_movk_i32 s2, 0xcd
	v_mul_lo_u16_sdwa v0, v52, s2 dst_sel:DWORD dst_unused:UNUSED_PAD src0_sel:BYTE_0 src1_sel:DWORD
	v_lshrrev_b16_e32 v36, 11, v0
	v_mul_lo_u16_e32 v0, 10, v36
	v_sub_u16_e32 v37, v52, v0
	v_mov_b32_e32 v0, 6
	v_lshlrev_b32_sdwa v0, v0, v37 dst_sel:DWORD dst_unused:UNUSED_PAD src0_sel:DWORD src1_sel:BYTE_0
	global_load_dwordx4 v[16:19], v0, s[8:9]
	global_load_dwordx4 v[30:33], v0, s[8:9] offset:16
	global_load_dwordx4 v[38:41], v0, s[8:9] offset:32
	;; [unrolled: 1-line block ×3, first 2 shown]
	s_mov_b32 s2, 0x134454ff
	s_mov_b32 s3, 0x3fee6f0e
	;; [unrolled: 1-line block ×8, first 2 shown]
	s_waitcnt lgkmcnt(0)
	s_barrier
	s_waitcnt vmcnt(3)
	v_mul_f64 v[0:1], v[10:11], v[18:19]
	s_waitcnt vmcnt(2)
	v_mul_f64 v[6:7], v[12:13], v[32:33]
	;; [unrolled: 2-line block ×4, first 2 shown]
	v_mul_f64 v[2:3], v[26:27], v[18:19]
	v_mul_f64 v[18:19], v[42:43], v[32:33]
	v_mul_f64 v[22:23], v[44:45], v[40:41]
	v_mul_f64 v[32:33], v[46:47], v[58:59]
	v_fmac_f64_e32 v[0:1], v[26:27], v[16:17]
	v_fmac_f64_e32 v[6:7], v[42:43], v[30:31]
	;; [unrolled: 1-line block ×4, first 2 shown]
	v_fma_f64 v[10:11], v[10:11], v[16:17], -v[2:3]
	v_fma_f64 v[16:17], v[12:13], v[30:31], -v[18:19]
	;; [unrolled: 1-line block ×4, first 2 shown]
	v_add_f64 v[2:3], v[6:7], v[20:21]
	v_add_f64 v[22:23], v[0:1], -v[6:7]
	v_add_f64 v[30:31], v[28:29], -v[20:21]
	v_add_f64 v[32:33], v[0:1], v[28:29]
	v_add_f64 v[12:13], v[10:11], -v[4:5]
	v_add_f64 v[26:27], v[16:17], -v[18:19]
	v_fma_f64 v[14:15], -0.5, v[2:3], v[24:25]
	v_add_f64 v[34:35], v[22:23], v[30:31]
	v_fma_f64 v[30:31], -0.5, v[32:33], v[24:25]
	v_add_f64 v[38:39], v[6:7], -v[0:1]
	v_add_f64 v[40:41], v[20:21], -v[28:29]
	v_fma_f64 v[22:23], s[2:3], v[12:13], v[14:15]
	v_fma_f64 v[2:3], s[14:15], v[26:27], v[30:31]
	v_add_f64 v[32:33], v[38:39], v[40:41]
	v_fmac_f64_e32 v[22:23], s[4:5], v[26:27]
	v_fmac_f64_e32 v[2:3], s[4:5], v[12:13]
	;; [unrolled: 1-line block ×4, first 2 shown]
	s_and_saveexec_b64 s[16:17], s[0:1]
	s_cbranch_execz .LBB0_21
; %bb.20:
	v_mul_f64 v[40:41], v[26:27], s[4:5]
	v_mul_f64 v[26:27], v[26:27], s[2:3]
	;; [unrolled: 1-line block ×4, first 2 shown]
	v_add_f64 v[26:27], v[26:27], v[30:31]
	v_add_f64 v[24:25], v[24:25], v[0:1]
	v_add_f64 v[12:13], v[26:27], -v[12:13]
	v_add_f64 v[14:15], v[14:15], -v[38:39]
	v_add_f64 v[24:25], v[24:25], v[6:7]
	v_mov_b32_e32 v27, 3
	v_mul_f64 v[34:35], v[34:35], s[12:13]
	v_add_f64 v[14:15], v[14:15], -v[40:41]
	v_add_f64 v[24:25], v[24:25], v[20:21]
	v_mul_u32_u24_e32 v26, 0x190, v36
	v_lshlrev_b32_sdwa v27, v27, v37 dst_sel:DWORD dst_unused:UNUSED_PAD src0_sel:DWORD src1_sel:BYTE_0
	v_mul_f64 v[32:33], v[32:33], s[12:13]
	v_add_f64 v[14:15], v[34:35], v[14:15]
	v_add_f64 v[24:25], v[24:25], v[28:29]
	v_add3_u32 v26, 0, v26, v27
	v_add_f64 v[12:13], v[32:33], v[12:13]
	ds_write2_b64 v26, v[24:25], v[14:15] offset1:10
	ds_write2_b64 v26, v[12:13], v[2:3] offset0:20 offset1:30
	ds_write_b64 v26, v[22:23] offset:320
.LBB0_21:
	s_or_b64 exec, exec, s[16:17]
	v_add_f64 v[28:29], v[0:1], -v[28:29]
	v_add_f64 v[20:21], v[6:7], -v[20:21]
	;; [unrolled: 1-line block ×4, first 2 shown]
	v_add_f64 v[32:33], v[0:1], v[6:7]
	v_add_f64 v[0:1], v[10:11], v[4:5]
	;; [unrolled: 1-line block ×3, first 2 shown]
	v_fma_f64 v[30:31], -0.5, v[0:1], v[8:9]
	v_add_f64 v[0:1], v[16:17], -v[10:11]
	v_add_f64 v[6:7], v[18:19], -v[4:5]
	v_fma_f64 v[26:27], -0.5, v[12:13], v[8:9]
	v_add_f64 v[34:35], v[0:1], v[6:7]
	s_waitcnt lgkmcnt(0)
	s_barrier
	ds_read2_b64 v[12:15], v48 offset1:250
	ds_read_b64 v[0:1], v48 offset:4000
	v_fma_f64 v[24:25], s[14:15], v[28:29], v[26:27]
	s_mov_b32 s15, 0xbfe2cf23
	s_mov_b32 s14, s4
	v_fma_f64 v[6:7], s[2:3], v[20:21], v[30:31]
	v_fmac_f64_e32 v[24:25], s[14:15], v[20:21]
	v_fmac_f64_e32 v[6:7], s[14:15], v[28:29]
	;; [unrolled: 1-line block ×4, first 2 shown]
	s_waitcnt lgkmcnt(0)
	s_barrier
	s_and_saveexec_b64 s[14:15], s[0:1]
	s_cbranch_execz .LBB0_23
; %bb.22:
	v_add_f64 v[8:9], v[8:9], v[10:11]
	v_add_f64 v[8:9], v[8:9], v[16:17]
	v_mul_f64 v[38:39], v[28:29], s[2:3]
	v_add_f64 v[8:9], v[8:9], v[18:19]
	v_mul_f64 v[40:41], v[20:21], s[4:5]
	v_mul_f64 v[20:21], v[20:21], s[2:3]
	v_add_f64 v[4:5], v[8:9], v[4:5]
	v_add_f64 v[8:9], v[26:27], v[38:39]
	v_mov_b32_e32 v17, 3
	v_mul_f64 v[32:33], v[32:33], s[12:13]
	v_mul_f64 v[28:29], v[28:29], s[4:5]
	v_add_f64 v[8:9], v[40:41], v[8:9]
	v_add_f64 v[10:11], v[30:31], -v[20:21]
	v_mul_u32_u24_e32 v16, 0x190, v36
	v_lshlrev_b32_sdwa v17, v17, v37 dst_sel:DWORD dst_unused:UNUSED_PAD src0_sel:DWORD src1_sel:BYTE_0
	v_mul_f64 v[34:35], v[34:35], s[12:13]
	v_add_f64 v[8:9], v[32:33], v[8:9]
	v_add_f64 v[10:11], v[28:29], v[10:11]
	v_add3_u32 v16, 0, v16, v17
	v_add_f64 v[10:11], v[34:35], v[10:11]
	ds_write2_b64 v16, v[4:5], v[8:9] offset1:10
	ds_write2_b64 v16, v[10:11], v[6:7] offset0:20 offset1:30
	ds_write_b64 v16, v[24:25] offset:320
.LBB0_23:
	s_or_b64 exec, exec, s[14:15]
	v_mov_b32_e32 v4, 41
	v_mul_lo_u16_sdwa v4, v52, v4 dst_sel:DWORD dst_unused:UNUSED_PAD src0_sel:BYTE_0 src1_sel:DWORD
	v_lshrrev_b16_e32 v4, 11, v4
	v_mul_lo_u16_e32 v5, 50, v4
	v_sub_u16_e32 v5, v52, v5
	v_mov_b32_e32 v8, 5
	v_lshlrev_b32_sdwa v16, v8, v5 dst_sel:DWORD dst_unused:UNUSED_PAD src0_sel:DWORD src1_sel:BYTE_0
	s_load_dwordx2 s[2:3], s[10:11], 0x0
	s_waitcnt lgkmcnt(0)
	s_barrier
	global_load_dwordx4 v[8:11], v16, s[8:9] offset:640
	global_load_dwordx4 v[30:33], v16, s[8:9] offset:656
	ds_read2_b64 v[16:19], v48 offset1:250
	ds_read_b64 v[26:27], v48 offset:4000
	v_mov_b32_e32 v20, 3
	v_mul_u32_u24_e32 v4, 0x4b0, v4
	v_lshlrev_b32_sdwa v5, v20, v5 dst_sel:DWORD dst_unused:UNUSED_PAD src0_sel:DWORD src1_sel:BYTE_0
	v_add3_u32 v28, 0, v4, v5
	s_mov_b32 s4, 0xe8584caa
	s_mov_b32 s5, 0xbfebb67a
	;; [unrolled: 1-line block ×4, first 2 shown]
	s_waitcnt lgkmcnt(0)
	s_barrier
	s_waitcnt vmcnt(1)
	v_mul_f64 v[4:5], v[18:19], v[10:11]
	s_waitcnt vmcnt(0)
	v_mul_f64 v[20:21], v[26:27], v[32:33]
	v_mul_f64 v[10:11], v[14:15], v[10:11]
	;; [unrolled: 1-line block ×3, first 2 shown]
	v_fmac_f64_e32 v[4:5], v[14:15], v[8:9]
	v_fmac_f64_e32 v[20:21], v[0:1], v[30:31]
	v_fma_f64 v[14:15], v[18:19], v[8:9], -v[10:11]
	v_fma_f64 v[26:27], v[26:27], v[30:31], -v[32:33]
	v_add_f64 v[10:11], v[4:5], v[20:21]
	v_add_f64 v[0:1], v[12:13], v[4:5]
	v_add_f64 v[18:19], v[14:15], -v[26:27]
	v_fmac_f64_e32 v[12:13], -0.5, v[10:11]
	v_add_f64 v[8:9], v[0:1], v[20:21]
	v_fma_f64 v[10:11], s[4:5], v[18:19], v[12:13]
	v_fmac_f64_e32 v[12:13], s[10:11], v[18:19]
	ds_write2_b64 v28, v[8:9], v[10:11] offset1:50
	ds_write_b64 v28, v[12:13] offset:800
	s_waitcnt lgkmcnt(0)
	s_barrier
	s_and_saveexec_b64 s[12:13], s[0:1]
	s_cbranch_execz .LBB0_25
; %bb.24:
	v_add_u32_e32 v0, 0x800, v48
	ds_read2_b64 v[8:11], v48 offset1:150
	ds_read2_b64 v[0:3], v0 offset0:44 offset1:194
	ds_read_b64 v[22:23], v48 offset:4800
	s_waitcnt lgkmcnt(1)
	v_mov_b64_e32 v[12:13], v[0:1]
.LBB0_25:
	s_or_b64 exec, exec, s[12:13]
	v_add_f64 v[0:1], v[16:17], v[14:15]
	v_add_f64 v[18:19], v[0:1], v[26:27]
	;; [unrolled: 1-line block ×3, first 2 shown]
	v_fmac_f64_e32 v[16:17], -0.5, v[0:1]
	v_add_f64 v[0:1], v[4:5], -v[20:21]
	v_fma_f64 v[20:21], s[10:11], v[0:1], v[16:17]
	v_fmac_f64_e32 v[16:17], s[4:5], v[0:1]
	s_waitcnt lgkmcnt(0)
	s_barrier
	ds_write2_b64 v28, v[18:19], v[20:21] offset1:50
	ds_write_b64 v28, v[16:17] offset:800
	s_waitcnt lgkmcnt(0)
	s_barrier
	s_and_saveexec_b64 s[4:5], s[0:1]
	s_cbranch_execnz .LBB0_28
; %bb.26:
	s_or_b64 exec, exec, s[4:5]
	s_and_b64 s[0:1], vcc, s[0:1]
	s_and_saveexec_b64 s[4:5], s[0:1]
	s_cbranch_execnz .LBB0_29
.LBB0_27:
	s_endpgm
.LBB0_28:
	v_add_u32_e32 v0, 0x800, v48
	ds_read2_b64 v[18:21], v48 offset1:150
	ds_read2_b64 v[4:7], v0 offset0:44 offset1:194
	ds_read_b64 v[24:25], v48 offset:4800
	s_waitcnt lgkmcnt(1)
	v_mov_b64_e32 v[16:17], v[4:5]
	s_or_b64 exec, exec, s[4:5]
	s_and_b64 s[0:1], vcc, s[0:1]
	s_and_saveexec_b64 s[4:5], s[0:1]
	s_cbranch_execz .LBB0_27
.LBB0_29:
	v_lshlrev_b32_e32 v42, 2, v52
	v_mov_b32_e32 v43, 0
	v_lshl_add_u64 v[0:1], v[42:43], 4, s[8:9]
	global_load_dwordx4 v[26:29], v[0:1], off offset:2256
	global_load_dwordx4 v[30:33], v[0:1], off offset:2240
	;; [unrolled: 1-line block ×4, first 2 shown]
	v_mul_lo_u32 v0, s3, v54
	v_mul_lo_u32 v1, s2, v55
	v_mad_u64_u32 v[44:45], s[0:1], s2, v54, 0
	v_add3_u32 v45, v45, v1, v0
	s_mov_b32 s4, 0x134454ff
	s_mov_b32 s5, 0x3fee6f0e
	;; [unrolled: 1-line block ×10, first 2 shown]
	v_mov_b32_e32 v53, v43
	s_waitcnt vmcnt(3)
	v_mul_f64 v[0:1], v[12:13], v[28:29]
	s_waitcnt vmcnt(2)
	v_mul_f64 v[4:5], v[10:11], v[32:33]
	;; [unrolled: 2-line block ×4, first 2 shown]
	v_mul_f64 v[28:29], v[16:17], v[28:29]
	v_mul_f64 v[36:37], v[6:7], v[36:37]
	;; [unrolled: 1-line block ×3, first 2 shown]
	s_waitcnt lgkmcnt(0)
	v_mul_f64 v[40:41], v[24:25], v[40:41]
	v_fma_f64 v[0:1], v[16:17], v[26:27], -v[0:1]
	v_fma_f64 v[4:5], v[20:21], v[30:31], -v[4:5]
	v_fma_f64 v[14:15], v[6:7], v[34:35], -v[14:15]
	v_fma_f64 v[20:21], v[24:25], v[38:39], -v[46:47]
	v_fmac_f64_e32 v[28:29], v[12:13], v[26:27]
	v_fmac_f64_e32 v[36:37], v[2:3], v[34:35]
	;; [unrolled: 1-line block ×4, first 2 shown]
	v_add_f64 v[2:3], v[0:1], -v[4:5]
	v_add_f64 v[6:7], v[14:15], -v[20:21]
	v_add_f64 v[10:11], v[4:5], v[20:21]
	v_add_f64 v[12:13], v[4:5], -v[0:1]
	v_add_f64 v[30:31], v[18:19], v[4:5]
	;; [unrolled: 2-line block ×3, first 2 shown]
	v_add_f64 v[58:59], v[28:29], v[36:37]
	v_add_f64 v[26:27], v[0:1], v[14:15]
	v_add_f64 v[48:49], v[0:1], -v[14:15]
	v_add_f64 v[60:61], v[2:3], v[6:7]
	v_fma_f64 v[2:3], -0.5, v[10:11], v[18:19]
	v_add_f64 v[10:11], v[0:1], v[30:31]
	v_fma_f64 v[0:1], -0.5, v[4:5], v[8:9]
	v_fma_f64 v[4:5], -0.5, v[58:59], v[8:9]
	v_add_f64 v[8:9], v[8:9], v[32:33]
	v_add_f64 v[34:35], v[28:29], -v[32:33]
	v_add_f64 v[38:39], v[36:37], -v[40:41]
	v_add_f64 v[30:31], v[14:15], v[10:11]
	v_fma_f64 v[10:11], s[10:11], v[48:49], v[0:1]
	v_fmac_f64_e32 v[0:1], s[4:5], v[48:49]
	v_add_f64 v[8:9], v[28:29], v[8:9]
	v_add_f64 v[22:23], v[28:29], -v[36:37]
	v_add_f64 v[24:25], v[32:33], -v[40:41]
	;; [unrolled: 1-line block ×3, first 2 shown]
	v_fma_f64 v[6:7], -0.5, v[26:27], v[18:19]
	v_add_f64 v[18:19], v[34:35], v[38:39]
	v_fmac_f64_e32 v[10:11], s[8:9], v[46:47]
	v_fmac_f64_e32 v[0:1], s[2:3], v[46:47]
	v_add_f64 v[8:9], v[36:37], v[8:9]
	v_add_f64 v[54:55], v[32:33], -v[28:29]
	v_add_f64 v[56:57], v[40:41], -v[36:37]
	v_add_f64 v[62:63], v[12:13], v[16:17]
	v_fma_f64 v[12:13], s[4:5], v[22:23], v[2:3]
	v_fmac_f64_e32 v[2:3], s[10:11], v[22:23]
	v_fma_f64 v[16:17], s[10:11], v[24:25], v[6:7]
	v_fmac_f64_e32 v[6:7], s[4:5], v[24:25]
	;; [unrolled: 2-line block ×3, first 2 shown]
	v_fmac_f64_e32 v[10:11], s[0:1], v[18:19]
	v_fmac_f64_e32 v[0:1], s[0:1], v[18:19]
	v_add_f64 v[18:19], v[8:9], v[40:41]
	v_lshl_add_u64 v[8:9], v[44:45], 4, s[6:7]
	v_add_f64 v[26:27], v[54:55], v[56:57]
	v_fmac_f64_e32 v[12:13], s[2:3], v[24:25]
	v_fmac_f64_e32 v[2:3], s[8:9], v[24:25]
	;; [unrolled: 1-line block ×6, first 2 shown]
	v_lshl_add_u64 v[8:9], v[50:51], 4, v[8:9]
	v_add_f64 v[20:21], v[30:31], v[20:21]
	v_fmac_f64_e32 v[12:13], s[0:1], v[60:61]
	v_fmac_f64_e32 v[2:3], s[0:1], v[60:61]
	v_fmac_f64_e32 v[16:17], s[0:1], v[62:63]
	v_fmac_f64_e32 v[6:7], s[0:1], v[62:63]
	v_fmac_f64_e32 v[14:15], s[0:1], v[26:27]
	v_fmac_f64_e32 v[4:5], s[0:1], v[26:27]
	v_lshl_add_u64 v[8:9], v[52:53], 4, v[8:9]
	s_movk_i32 s0, 0x1000
	global_store_dwordx4 v[8:9], v[18:21], off
	global_store_dwordx4 v[8:9], v[4:7], off offset:2400
	s_nop 1
	v_add_co_u32_e32 v4, vcc, s0, v8
	s_nop 1
	v_addc_co_u32_e32 v5, vcc, 0, v9, vcc
	global_store_dwordx4 v[4:5], v[0:3], off offset:704
	global_store_dwordx4 v[4:5], v[10:13], off offset:3104
	s_nop 0
	v_add_co_u32_e32 v0, vcc, 0x2000, v8
	s_nop 1
	v_addc_co_u32_e32 v1, vcc, 0, v9, vcc
	global_store_dwordx4 v[0:1], v[14:17], off offset:1408
	s_endpgm
	.section	.rodata,"a",@progbits
	.p2align	6, 0x0
	.amdhsa_kernel fft_rtc_back_len750_factors_10_5_3_5_wgs_250_tpt_250_halfLds_dp_op_CI_CI_unitstride_sbrr_dirReg
		.amdhsa_group_segment_fixed_size 0
		.amdhsa_private_segment_fixed_size 0
		.amdhsa_kernarg_size 104
		.amdhsa_user_sgpr_count 2
		.amdhsa_user_sgpr_dispatch_ptr 0
		.amdhsa_user_sgpr_queue_ptr 0
		.amdhsa_user_sgpr_kernarg_segment_ptr 1
		.amdhsa_user_sgpr_dispatch_id 0
		.amdhsa_user_sgpr_kernarg_preload_length 0
		.amdhsa_user_sgpr_kernarg_preload_offset 0
		.amdhsa_user_sgpr_private_segment_size 0
		.amdhsa_uses_dynamic_stack 0
		.amdhsa_enable_private_segment 0
		.amdhsa_system_sgpr_workgroup_id_x 1
		.amdhsa_system_sgpr_workgroup_id_y 0
		.amdhsa_system_sgpr_workgroup_id_z 0
		.amdhsa_system_sgpr_workgroup_info 0
		.amdhsa_system_vgpr_workitem_id 0
		.amdhsa_next_free_vgpr 80
		.amdhsa_next_free_sgpr 28
		.amdhsa_accum_offset 80
		.amdhsa_reserve_vcc 1
		.amdhsa_float_round_mode_32 0
		.amdhsa_float_round_mode_16_64 0
		.amdhsa_float_denorm_mode_32 3
		.amdhsa_float_denorm_mode_16_64 3
		.amdhsa_dx10_clamp 1
		.amdhsa_ieee_mode 1
		.amdhsa_fp16_overflow 0
		.amdhsa_tg_split 0
		.amdhsa_exception_fp_ieee_invalid_op 0
		.amdhsa_exception_fp_denorm_src 0
		.amdhsa_exception_fp_ieee_div_zero 0
		.amdhsa_exception_fp_ieee_overflow 0
		.amdhsa_exception_fp_ieee_underflow 0
		.amdhsa_exception_fp_ieee_inexact 0
		.amdhsa_exception_int_div_zero 0
	.end_amdhsa_kernel
	.text
.Lfunc_end0:
	.size	fft_rtc_back_len750_factors_10_5_3_5_wgs_250_tpt_250_halfLds_dp_op_CI_CI_unitstride_sbrr_dirReg, .Lfunc_end0-fft_rtc_back_len750_factors_10_5_3_5_wgs_250_tpt_250_halfLds_dp_op_CI_CI_unitstride_sbrr_dirReg
                                        ; -- End function
	.section	.AMDGPU.csdata,"",@progbits
; Kernel info:
; codeLenInByte = 5100
; NumSgprs: 34
; NumVgprs: 80
; NumAgprs: 0
; TotalNumVgprs: 80
; ScratchSize: 0
; MemoryBound: 1
; FloatMode: 240
; IeeeMode: 1
; LDSByteSize: 0 bytes/workgroup (compile time only)
; SGPRBlocks: 4
; VGPRBlocks: 9
; NumSGPRsForWavesPerEU: 34
; NumVGPRsForWavesPerEU: 80
; AccumOffset: 80
; Occupancy: 6
; WaveLimiterHint : 1
; COMPUTE_PGM_RSRC2:SCRATCH_EN: 0
; COMPUTE_PGM_RSRC2:USER_SGPR: 2
; COMPUTE_PGM_RSRC2:TRAP_HANDLER: 0
; COMPUTE_PGM_RSRC2:TGID_X_EN: 1
; COMPUTE_PGM_RSRC2:TGID_Y_EN: 0
; COMPUTE_PGM_RSRC2:TGID_Z_EN: 0
; COMPUTE_PGM_RSRC2:TIDIG_COMP_CNT: 0
; COMPUTE_PGM_RSRC3_GFX90A:ACCUM_OFFSET: 19
; COMPUTE_PGM_RSRC3_GFX90A:TG_SPLIT: 0
	.text
	.p2alignl 6, 3212836864
	.fill 256, 4, 3212836864
	.type	__hip_cuid_434836dfaa62af9f,@object ; @__hip_cuid_434836dfaa62af9f
	.section	.bss,"aw",@nobits
	.globl	__hip_cuid_434836dfaa62af9f
__hip_cuid_434836dfaa62af9f:
	.byte	0                               ; 0x0
	.size	__hip_cuid_434836dfaa62af9f, 1

	.ident	"AMD clang version 19.0.0git (https://github.com/RadeonOpenCompute/llvm-project roc-6.4.0 25133 c7fe45cf4b819c5991fe208aaa96edf142730f1d)"
	.section	".note.GNU-stack","",@progbits
	.addrsig
	.addrsig_sym __hip_cuid_434836dfaa62af9f
	.amdgpu_metadata
---
amdhsa.kernels:
  - .agpr_count:     0
    .args:
      - .actual_access:  read_only
        .address_space:  global
        .offset:         0
        .size:           8
        .value_kind:     global_buffer
      - .offset:         8
        .size:           8
        .value_kind:     by_value
      - .actual_access:  read_only
        .address_space:  global
        .offset:         16
        .size:           8
        .value_kind:     global_buffer
      - .actual_access:  read_only
        .address_space:  global
        .offset:         24
        .size:           8
        .value_kind:     global_buffer
      - .actual_access:  read_only
        .address_space:  global
        .offset:         32
        .size:           8
        .value_kind:     global_buffer
      - .offset:         40
        .size:           8
        .value_kind:     by_value
      - .actual_access:  read_only
        .address_space:  global
        .offset:         48
        .size:           8
        .value_kind:     global_buffer
      - .actual_access:  read_only
        .address_space:  global
        .offset:         56
        .size:           8
        .value_kind:     global_buffer
      - .offset:         64
        .size:           4
        .value_kind:     by_value
      - .actual_access:  read_only
        .address_space:  global
        .offset:         72
        .size:           8
        .value_kind:     global_buffer
      - .actual_access:  read_only
        .address_space:  global
        .offset:         80
        .size:           8
        .value_kind:     global_buffer
      - .actual_access:  read_only
        .address_space:  global
        .offset:         88
        .size:           8
        .value_kind:     global_buffer
      - .actual_access:  write_only
        .address_space:  global
        .offset:         96
        .size:           8
        .value_kind:     global_buffer
    .group_segment_fixed_size: 0
    .kernarg_segment_align: 8
    .kernarg_segment_size: 104
    .language:       OpenCL C
    .language_version:
      - 2
      - 0
    .max_flat_workgroup_size: 250
    .name:           fft_rtc_back_len750_factors_10_5_3_5_wgs_250_tpt_250_halfLds_dp_op_CI_CI_unitstride_sbrr_dirReg
    .private_segment_fixed_size: 0
    .sgpr_count:     34
    .sgpr_spill_count: 0
    .symbol:         fft_rtc_back_len750_factors_10_5_3_5_wgs_250_tpt_250_halfLds_dp_op_CI_CI_unitstride_sbrr_dirReg.kd
    .uniform_work_group_size: 1
    .uses_dynamic_stack: false
    .vgpr_count:     80
    .vgpr_spill_count: 0
    .wavefront_size: 64
amdhsa.target:   amdgcn-amd-amdhsa--gfx950
amdhsa.version:
  - 1
  - 2
...

	.end_amdgpu_metadata
